;; amdgpu-corpus repo=zjin-lcf/HeCBench kind=compiled arch=gfx90a opt=O3
	.text
	.amdgcn_target "amdgcn-amd-amdhsa--gfx90a"
	.amdhsa_code_object_version 6
	.protected	_Z10base64_encPKhPhcmj  ; -- Begin function _Z10base64_encPKhPhcmj
	.globl	_Z10base64_encPKhPhcmj
	.p2align	8
	.type	_Z10base64_encPKhPhcmj,@function
_Z10base64_encPKhPhcmj:                 ; @_Z10base64_encPKhPhcmj
; %bb.0:
	s_load_dword s2, s[4:5], 0x34
	s_load_dword s3, s[4:5], 0x20
	s_load_dwordx2 s[0:1], s[4:5], 0x18
	v_mov_b32_e32 v1, 0
	s_waitcnt lgkmcnt(0)
	s_and_b32 s2, s2, 0xffff
	s_mul_i32 s2, s6, s2
	s_add_i32 s2, s2, s3
	v_add_u32_e32 v0, s2, v0
	v_cmp_gt_u64_e32 vcc, s[0:1], v[0:1]
	s_and_saveexec_b64 s[2:3], vcc
	s_cbranch_execz .LBB0_13
; %bb.1:
	s_load_dwordx2 s[2:3], s[4:5], 0x0
	s_load_dword s8, s[4:5], 0x10
	s_add_u32 s0, s0, -1
	s_addc_u32 s1, s1, -1
	v_cmp_eq_u64_e32 vcc, s[0:1], v[0:1]
	s_waitcnt lgkmcnt(0)
	v_mad_u64_u32 v[2:3], s[2:3], v0, 3, s[2:3]
	global_load_ushort v4, v[2:3], off
	global_load_sbyte v5, v[2:3], off offset:2
	v_mov_b32_e32 v2, 1
	s_getpc_b64 s[2:3]
	s_add_u32 s2, s2, __const._Z10base64_encPKhPhcmj.base64chars@rel32@lo+4
	s_addc_u32 s3, s3, __const._Z10base64_encPKhPhcmj.base64chars@rel32@hi+12
	v_cmp_eq_u16_sdwa s[6:7], s8, v2 src0_sel:BYTE_0 src1_sel:DWORD
	s_and_b64 s[6:7], s[6:7], vcc
	v_cmp_ne_u64_e32 vcc, s[0:1], v[0:1]
	s_waitcnt vmcnt(1)
	v_lshrrev_b32_e32 v7, 8, v4
	v_bfe_u32 v2, v4, 2, 6
	v_lshlrev_b32_e32 v3, 4, v4
	v_lshrrev_b16_e32 v4, 4, v7
	v_cndmask_b32_e64 v4, v4, 0, s[6:7]
	v_and_or_b32 v3, v3, 48, v4
	global_load_ubyte v4, v2, s[2:3]
	global_load_ubyte v6, v3, s[2:3]
	v_cmp_eq_u16_sdwa s[2:3], s8, v1 src0_sel:BYTE_0 src1_sel:DWORD
	s_or_b64 s[0:1], s[2:3], vcc
	s_mov_b64 s[2:3], 0
                                        ; implicit-def: $vgpr2_vgpr3
	s_and_saveexec_b64 s[6:7], s[0:1]
	s_xor_b64 s[6:7], exec, s[6:7]
	s_cbranch_execz .LBB0_3
; %bb.2:
	s_waitcnt vmcnt(2)
	v_lshrrev_b16_e32 v3, 6, v5
	v_lshlrev_b32_e32 v2, 2, v7
	v_and_b32_e32 v3, 3, v3
	v_and_b32_e32 v2, 60, v2
	;; [unrolled: 1-line block ×3, first 2 shown]
	s_mov_b64 s[2:3], exec
	v_mov_b32_e32 v3, 0
	v_or_b32_e32 v2, v2, v7
                                        ; implicit-def: $vgpr7
.LBB0_3:
	s_or_saveexec_b64 s[6:7], s[6:7]
                                        ; implicit-def: $sgpr10
	s_xor_b64 exec, exec, s[6:7]
	s_cbranch_execz .LBB0_8
; %bb.4:
	v_mov_b32_e32 v2, 1
	v_cmp_ne_u16_sdwa s[8:9], s8, v2 src0_sel:BYTE_0 src1_sel:DWORD
	s_and_b64 vcc, exec, s[8:9]
	s_cbranch_vccz .LBB0_6
; %bb.5:
	v_lshlrev_b32_e32 v2, 2, v7
	v_and_b32_e32 v2, 60, v2
	v_mov_b32_e32 v3, 0
	s_or_b64 s[8:9], s[2:3], exec
	s_branch .LBB0_7
.LBB0_6:
	s_mov_b64 s[8:9], s[2:3]
                                        ; implicit-def: $vgpr2_vgpr3
.LBB0_7:
	s_andn2_b64 s[2:3], s[2:3], exec
	s_and_b64 s[8:9], s[8:9], exec
	s_mov_b32 s10, 61
	s_or_b64 s[2:3], s[2:3], s[8:9]
.LBB0_8:
	s_or_b64 exec, exec, s[6:7]
	s_load_dwordx2 s[4:5], s[4:5], 0x8
	v_mov_b32_e32 v7, s10
	s_and_saveexec_b64 s[6:7], s[2:3]
	s_cbranch_execz .LBB0_10
; %bb.9:
	s_getpc_b64 s[2:3]
	s_add_u32 s2, s2, __const._Z10base64_encPKhPhcmj.base64chars@rel32@lo+4
	s_addc_u32 s3, s3, __const._Z10base64_encPKhPhcmj.base64chars@rel32@hi+12
	v_mov_b32_e32 v7, s3
	v_add_co_u32_e32 v2, vcc, s2, v2
	v_addc_co_u32_e32 v3, vcc, v3, v7, vcc
	global_load_ubyte v7, v[2:3], off
.LBB0_10:
	s_or_b64 exec, exec, s[6:7]
	v_mov_b32_e32 v2, 61
	s_and_saveexec_b64 s[2:3], s[0:1]
	s_cbranch_execz .LBB0_12
; %bb.11:
	s_waitcnt vmcnt(2)
	v_and_b32_e32 v2, 63, v5
	s_getpc_b64 s[0:1]
	s_add_u32 s0, s0, __const._Z10base64_encPKhPhcmj.base64chars@rel32@lo+4
	s_addc_u32 s1, s1, __const._Z10base64_encPKhPhcmj.base64chars@rel32@hi+12
	v_mov_b32_e32 v3, s1
	v_add_co_u32_e32 v2, vcc, s0, v2
	v_addc_co_u32_e32 v3, vcc, 0, v3, vcc
	global_load_ubyte v2, v[2:3], off
.LBB0_12:
	s_or_b64 exec, exec, s[2:3]
	v_lshlrev_b64 v[0:1], 2, v[0:1]
	s_waitcnt lgkmcnt(0)
	v_mov_b32_e32 v3, s5
	v_add_co_u32_e32 v0, vcc, s4, v0
	v_addc_co_u32_e32 v1, vcc, v3, v1, vcc
	s_waitcnt vmcnt(0)
	v_lshlrev_b16_e32 v3, 8, v6
	v_lshlrev_b16_e32 v2, 8, v2
	v_or_b32_sdwa v3, v4, v3 dst_sel:DWORD dst_unused:UNUSED_PAD src0_sel:BYTE_0 src1_sel:DWORD
	v_or_b32_sdwa v2, v7, v2 dst_sel:WORD_1 dst_unused:UNUSED_PAD src0_sel:BYTE_0 src1_sel:DWORD
	v_or_b32_sdwa v2, v3, v2 dst_sel:DWORD dst_unused:UNUSED_PAD src0_sel:WORD_0 src1_sel:DWORD
	global_store_dword v[0:1], v2, off
.LBB0_13:
	s_endpgm
	.section	.rodata,"a",@progbits
	.p2align	6, 0x0
	.amdhsa_kernel _Z10base64_encPKhPhcmj
		.amdhsa_group_segment_fixed_size 0
		.amdhsa_private_segment_fixed_size 0
		.amdhsa_kernarg_size 296
		.amdhsa_user_sgpr_count 6
		.amdhsa_user_sgpr_private_segment_buffer 1
		.amdhsa_user_sgpr_dispatch_ptr 0
		.amdhsa_user_sgpr_queue_ptr 0
		.amdhsa_user_sgpr_kernarg_segment_ptr 1
		.amdhsa_user_sgpr_dispatch_id 0
		.amdhsa_user_sgpr_flat_scratch_init 0
		.amdhsa_user_sgpr_kernarg_preload_length 0
		.amdhsa_user_sgpr_kernarg_preload_offset 0
		.amdhsa_user_sgpr_private_segment_size 0
		.amdhsa_uses_dynamic_stack 0
		.amdhsa_system_sgpr_private_segment_wavefront_offset 0
		.amdhsa_system_sgpr_workgroup_id_x 1
		.amdhsa_system_sgpr_workgroup_id_y 0
		.amdhsa_system_sgpr_workgroup_id_z 0
		.amdhsa_system_sgpr_workgroup_info 0
		.amdhsa_system_vgpr_workitem_id 0
		.amdhsa_next_free_vgpr 8
		.amdhsa_next_free_sgpr 11
		.amdhsa_accum_offset 8
		.amdhsa_reserve_vcc 1
		.amdhsa_reserve_flat_scratch 0
		.amdhsa_float_round_mode_32 0
		.amdhsa_float_round_mode_16_64 0
		.amdhsa_float_denorm_mode_32 3
		.amdhsa_float_denorm_mode_16_64 3
		.amdhsa_dx10_clamp 1
		.amdhsa_ieee_mode 1
		.amdhsa_fp16_overflow 0
		.amdhsa_tg_split 0
		.amdhsa_exception_fp_ieee_invalid_op 0
		.amdhsa_exception_fp_denorm_src 0
		.amdhsa_exception_fp_ieee_div_zero 0
		.amdhsa_exception_fp_ieee_overflow 0
		.amdhsa_exception_fp_ieee_underflow 0
		.amdhsa_exception_fp_ieee_inexact 0
		.amdhsa_exception_int_div_zero 0
	.end_amdhsa_kernel
	.text
.Lfunc_end0:
	.size	_Z10base64_encPKhPhcmj, .Lfunc_end0-_Z10base64_encPKhPhcmj
                                        ; -- End function
	.section	.AMDGPU.csdata,"",@progbits
; Kernel info:
; codeLenInByte = 560
; NumSgprs: 15
; NumVgprs: 8
; NumAgprs: 0
; TotalNumVgprs: 8
; ScratchSize: 0
; MemoryBound: 0
; FloatMode: 240
; IeeeMode: 1
; LDSByteSize: 0 bytes/workgroup (compile time only)
; SGPRBlocks: 1
; VGPRBlocks: 0
; NumSGPRsForWavesPerEU: 15
; NumVGPRsForWavesPerEU: 8
; AccumOffset: 8
; Occupancy: 8
; WaveLimiterHint : 0
; COMPUTE_PGM_RSRC2:SCRATCH_EN: 0
; COMPUTE_PGM_RSRC2:USER_SGPR: 6
; COMPUTE_PGM_RSRC2:TRAP_HANDLER: 0
; COMPUTE_PGM_RSRC2:TGID_X_EN: 1
; COMPUTE_PGM_RSRC2:TGID_Y_EN: 0
; COMPUTE_PGM_RSRC2:TGID_Z_EN: 0
; COMPUTE_PGM_RSRC2:TIDIG_COMP_CNT: 0
; COMPUTE_PGM_RSRC3_GFX90A:ACCUM_OFFSET: 1
; COMPUTE_PGM_RSRC3_GFX90A:TG_SPLIT: 0
	.text
	.p2alignl 6, 3212836864
	.fill 256, 4, 3212836864
	.type	__const._Z10base64_encPKhPhcmj.base64chars,@object ; @__const._Z10base64_encPKhPhcmj.base64chars
	.section	.rodata.str1.16,"aMS",@progbits,1
	.p2align	4, 0x0
__const._Z10base64_encPKhPhcmj.base64chars:
	.asciz	"ABCDEFGHIJKLMNOPQRSTUVWXYZabcdefghijklmnopqrstuvwxyz0123456789+/"
	.size	__const._Z10base64_encPKhPhcmj.base64chars, 65

	.type	__hip_cuid_d934fd3c8b0309f9,@object ; @__hip_cuid_d934fd3c8b0309f9
	.section	.bss,"aw",@nobits
	.globl	__hip_cuid_d934fd3c8b0309f9
__hip_cuid_d934fd3c8b0309f9:
	.byte	0                               ; 0x0
	.size	__hip_cuid_d934fd3c8b0309f9, 1

	.ident	"AMD clang version 19.0.0git (https://github.com/RadeonOpenCompute/llvm-project roc-6.4.0 25133 c7fe45cf4b819c5991fe208aaa96edf142730f1d)"
	.section	".note.GNU-stack","",@progbits
	.addrsig
	.addrsig_sym __hip_cuid_d934fd3c8b0309f9
	.amdgpu_metadata
---
amdhsa.kernels:
  - .agpr_count:     0
    .args:
      - .actual_access:  read_only
        .address_space:  global
        .offset:         0
        .size:           8
        .value_kind:     global_buffer
      - .actual_access:  write_only
        .address_space:  global
        .offset:         8
        .size:           8
        .value_kind:     global_buffer
      - .offset:         16
        .size:           1
        .value_kind:     by_value
      - .offset:         24
        .size:           8
        .value_kind:     by_value
      - .offset:         32
        .size:           4
        .value_kind:     by_value
      - .offset:         40
        .size:           4
        .value_kind:     hidden_block_count_x
      - .offset:         44
        .size:           4
        .value_kind:     hidden_block_count_y
      - .offset:         48
        .size:           4
        .value_kind:     hidden_block_count_z
      - .offset:         52
        .size:           2
        .value_kind:     hidden_group_size_x
      - .offset:         54
        .size:           2
        .value_kind:     hidden_group_size_y
      - .offset:         56
        .size:           2
        .value_kind:     hidden_group_size_z
      - .offset:         58
        .size:           2
        .value_kind:     hidden_remainder_x
      - .offset:         60
        .size:           2
        .value_kind:     hidden_remainder_y
      - .offset:         62
        .size:           2
        .value_kind:     hidden_remainder_z
      - .offset:         80
        .size:           8
        .value_kind:     hidden_global_offset_x
      - .offset:         88
        .size:           8
        .value_kind:     hidden_global_offset_y
      - .offset:         96
        .size:           8
        .value_kind:     hidden_global_offset_z
      - .offset:         104
        .size:           2
        .value_kind:     hidden_grid_dims
    .group_segment_fixed_size: 0
    .kernarg_segment_align: 8
    .kernarg_segment_size: 296
    .language:       OpenCL C
    .language_version:
      - 2
      - 0
    .max_flat_workgroup_size: 1024
    .name:           _Z10base64_encPKhPhcmj
    .private_segment_fixed_size: 0
    .sgpr_count:     15
    .sgpr_spill_count: 0
    .symbol:         _Z10base64_encPKhPhcmj.kd
    .uniform_work_group_size: 1
    .uses_dynamic_stack: false
    .vgpr_count:     8
    .vgpr_spill_count: 0
    .wavefront_size: 64
amdhsa.target:   amdgcn-amd-amdhsa--gfx90a
amdhsa.version:
  - 1
  - 2
...

	.end_amdgpu_metadata
